;; amdgpu-corpus repo=ROCm/rocFFT kind=compiled arch=gfx1030 opt=O3
	.text
	.amdgcn_target "amdgcn-amd-amdhsa--gfx1030"
	.amdhsa_code_object_version 6
	.protected	fft_rtc_back_len250_factors_10_5_5_wgs_125_tpt_25_halfLds_half_op_CI_CI_unitstride_sbrr_C2R_dirReg ; -- Begin function fft_rtc_back_len250_factors_10_5_5_wgs_125_tpt_25_halfLds_half_op_CI_CI_unitstride_sbrr_C2R_dirReg
	.globl	fft_rtc_back_len250_factors_10_5_5_wgs_125_tpt_25_halfLds_half_op_CI_CI_unitstride_sbrr_C2R_dirReg
	.p2align	8
	.type	fft_rtc_back_len250_factors_10_5_5_wgs_125_tpt_25_halfLds_half_op_CI_CI_unitstride_sbrr_C2R_dirReg,@function
fft_rtc_back_len250_factors_10_5_5_wgs_125_tpt_25_halfLds_half_op_CI_CI_unitstride_sbrr_C2R_dirReg: ; @fft_rtc_back_len250_factors_10_5_5_wgs_125_tpt_25_halfLds_half_op_CI_CI_unitstride_sbrr_C2R_dirReg
; %bb.0:
	s_load_dwordx4 s[12:15], s[4:5], 0x0
	v_mul_u32_u24_e32 v1, 0xa3e, v0
	s_clause 0x1
	s_load_dwordx4 s[8:11], s[4:5], 0x58
	s_load_dwordx4 s[16:19], s[4:5], 0x18
	v_mov_b32_e32 v10, 0
	v_mov_b32_e32 v6, 0
	;; [unrolled: 1-line block ×3, first 2 shown]
	v_lshrrev_b32_e32 v1, 16, v1
	v_mad_u64_u32 v[8:9], null, s6, 5, v[1:2]
	v_mov_b32_e32 v9, v10
	v_mov_b32_e32 v1, v6
	;; [unrolled: 1-line block ×4, first 2 shown]
	s_waitcnt lgkmcnt(0)
	v_cmp_lt_u64_e64 s0, s[14:15], 2
	v_mov_b32_e32 v4, v9
	s_and_b32 vcc_lo, exec_lo, s0
	s_cbranch_vccnz .LBB0_8
; %bb.1:
	s_load_dwordx2 s[0:1], s[4:5], 0x10
	v_mov_b32_e32 v6, 0
	v_mov_b32_e32 v7, 0
	s_add_u32 s2, s18, 8
	v_mov_b32_e32 v13, v9
	s_addc_u32 s3, s19, 0
	v_mov_b32_e32 v1, v6
	v_mov_b32_e32 v12, v8
	s_add_u32 s6, s16, 8
	v_mov_b32_e32 v2, v7
	s_addc_u32 s7, s17, 0
	s_mov_b64 s[22:23], 1
	s_waitcnt lgkmcnt(0)
	s_add_u32 s20, s0, 8
	s_addc_u32 s21, s1, 0
.LBB0_2:                                ; =>This Inner Loop Header: Depth=1
	s_load_dwordx2 s[24:25], s[20:21], 0x0
                                        ; implicit-def: $vgpr3_vgpr4
	s_mov_b32 s0, exec_lo
	s_waitcnt lgkmcnt(0)
	v_or_b32_e32 v11, s25, v13
	v_cmpx_ne_u64_e32 0, v[10:11]
	s_xor_b32 s1, exec_lo, s0
	s_cbranch_execz .LBB0_4
; %bb.3:                                ;   in Loop: Header=BB0_2 Depth=1
	v_cvt_f32_u32_e32 v3, s24
	v_cvt_f32_u32_e32 v4, s25
	s_sub_u32 s0, 0, s24
	s_subb_u32 s26, 0, s25
	v_fmac_f32_e32 v3, 0x4f800000, v4
	v_rcp_f32_e32 v3, v3
	v_mul_f32_e32 v3, 0x5f7ffffc, v3
	v_mul_f32_e32 v4, 0x2f800000, v3
	v_trunc_f32_e32 v4, v4
	v_fmac_f32_e32 v3, 0xcf800000, v4
	v_cvt_u32_f32_e32 v4, v4
	v_cvt_u32_f32_e32 v3, v3
	v_mul_lo_u32 v5, s0, v4
	v_mul_hi_u32 v9, s0, v3
	v_mul_lo_u32 v11, s26, v3
	v_add_nc_u32_e32 v5, v9, v5
	v_mul_lo_u32 v9, s0, v3
	v_add_nc_u32_e32 v5, v5, v11
	v_mul_hi_u32 v11, v3, v9
	v_mul_lo_u32 v14, v3, v5
	v_mul_hi_u32 v15, v3, v5
	v_mul_hi_u32 v16, v4, v9
	v_mul_lo_u32 v9, v4, v9
	v_mul_hi_u32 v17, v4, v5
	v_mul_lo_u32 v5, v4, v5
	v_add_co_u32 v11, vcc_lo, v11, v14
	v_add_co_ci_u32_e32 v14, vcc_lo, 0, v15, vcc_lo
	v_add_co_u32 v9, vcc_lo, v11, v9
	v_add_co_ci_u32_e32 v9, vcc_lo, v14, v16, vcc_lo
	v_add_co_ci_u32_e32 v11, vcc_lo, 0, v17, vcc_lo
	v_add_co_u32 v5, vcc_lo, v9, v5
	v_add_co_ci_u32_e32 v9, vcc_lo, 0, v11, vcc_lo
	v_add_co_u32 v3, vcc_lo, v3, v5
	v_add_co_ci_u32_e32 v4, vcc_lo, v4, v9, vcc_lo
	v_mul_hi_u32 v5, s0, v3
	v_mul_lo_u32 v11, s26, v3
	v_mul_lo_u32 v9, s0, v4
	v_add_nc_u32_e32 v5, v5, v9
	v_mul_lo_u32 v9, s0, v3
	v_add_nc_u32_e32 v5, v5, v11
	v_mul_hi_u32 v11, v3, v9
	v_mul_lo_u32 v14, v3, v5
	v_mul_hi_u32 v15, v3, v5
	v_mul_hi_u32 v16, v4, v9
	v_mul_lo_u32 v9, v4, v9
	v_mul_hi_u32 v17, v4, v5
	v_mul_lo_u32 v5, v4, v5
	v_add_co_u32 v11, vcc_lo, v11, v14
	v_add_co_ci_u32_e32 v14, vcc_lo, 0, v15, vcc_lo
	v_add_co_u32 v9, vcc_lo, v11, v9
	v_add_co_ci_u32_e32 v9, vcc_lo, v14, v16, vcc_lo
	v_add_co_ci_u32_e32 v11, vcc_lo, 0, v17, vcc_lo
	v_add_co_u32 v5, vcc_lo, v9, v5
	v_add_co_ci_u32_e32 v9, vcc_lo, 0, v11, vcc_lo
	v_add_co_u32 v5, vcc_lo, v3, v5
	v_add_co_ci_u32_e32 v9, vcc_lo, v4, v9, vcc_lo
	v_mul_hi_u32 v11, v12, v5
	v_mad_u64_u32 v[14:15], null, v13, v5, 0
	v_mad_u64_u32 v[3:4], null, v12, v9, 0
	;; [unrolled: 1-line block ×3, first 2 shown]
	v_add_co_u32 v3, vcc_lo, v11, v3
	v_add_co_ci_u32_e32 v4, vcc_lo, 0, v4, vcc_lo
	v_add_co_u32 v3, vcc_lo, v3, v14
	v_add_co_ci_u32_e32 v3, vcc_lo, v4, v15, vcc_lo
	v_add_co_ci_u32_e32 v4, vcc_lo, 0, v17, vcc_lo
	v_add_co_u32 v5, vcc_lo, v3, v16
	v_add_co_ci_u32_e32 v9, vcc_lo, 0, v4, vcc_lo
	v_mul_lo_u32 v11, s25, v5
	v_mad_u64_u32 v[3:4], null, s24, v5, 0
	v_mul_lo_u32 v14, s24, v9
	v_sub_co_u32 v3, vcc_lo, v12, v3
	v_add3_u32 v4, v4, v14, v11
	v_sub_nc_u32_e32 v11, v13, v4
	v_subrev_co_ci_u32_e64 v11, s0, s25, v11, vcc_lo
	v_add_co_u32 v14, s0, v5, 2
	v_add_co_ci_u32_e64 v15, s0, 0, v9, s0
	v_sub_co_u32 v16, s0, v3, s24
	v_sub_co_ci_u32_e32 v4, vcc_lo, v13, v4, vcc_lo
	v_subrev_co_ci_u32_e64 v11, s0, 0, v11, s0
	v_cmp_le_u32_e32 vcc_lo, s24, v16
	v_cmp_eq_u32_e64 s0, s25, v4
	v_cndmask_b32_e64 v16, 0, -1, vcc_lo
	v_cmp_le_u32_e32 vcc_lo, s25, v11
	v_cndmask_b32_e64 v17, 0, -1, vcc_lo
	v_cmp_le_u32_e32 vcc_lo, s24, v3
	;; [unrolled: 2-line block ×3, first 2 shown]
	v_cndmask_b32_e64 v18, 0, -1, vcc_lo
	v_cmp_eq_u32_e32 vcc_lo, s25, v11
	v_cndmask_b32_e64 v3, v18, v3, s0
	v_cndmask_b32_e32 v11, v17, v16, vcc_lo
	v_add_co_u32 v16, vcc_lo, v5, 1
	v_add_co_ci_u32_e32 v17, vcc_lo, 0, v9, vcc_lo
	v_cmp_ne_u32_e32 vcc_lo, 0, v11
	v_cndmask_b32_e32 v4, v17, v15, vcc_lo
	v_cndmask_b32_e32 v11, v16, v14, vcc_lo
	v_cmp_ne_u32_e32 vcc_lo, 0, v3
	v_cndmask_b32_e32 v4, v9, v4, vcc_lo
	v_cndmask_b32_e32 v3, v5, v11, vcc_lo
.LBB0_4:                                ;   in Loop: Header=BB0_2 Depth=1
	s_andn2_saveexec_b32 s0, s1
	s_cbranch_execz .LBB0_6
; %bb.5:                                ;   in Loop: Header=BB0_2 Depth=1
	v_cvt_f32_u32_e32 v3, s24
	s_sub_i32 s1, 0, s24
	v_rcp_iflag_f32_e32 v3, v3
	v_mul_f32_e32 v3, 0x4f7ffffe, v3
	v_cvt_u32_f32_e32 v3, v3
	v_mul_lo_u32 v4, s1, v3
	v_mul_hi_u32 v4, v3, v4
	v_add_nc_u32_e32 v3, v3, v4
	v_mul_hi_u32 v3, v12, v3
	v_mul_lo_u32 v4, v3, s24
	v_add_nc_u32_e32 v5, 1, v3
	v_sub_nc_u32_e32 v4, v12, v4
	v_subrev_nc_u32_e32 v9, s24, v4
	v_cmp_le_u32_e32 vcc_lo, s24, v4
	v_cndmask_b32_e32 v4, v4, v9, vcc_lo
	v_cndmask_b32_e32 v3, v3, v5, vcc_lo
	v_cmp_le_u32_e32 vcc_lo, s24, v4
	v_add_nc_u32_e32 v5, 1, v3
	v_mov_b32_e32 v4, v10
	v_cndmask_b32_e32 v3, v3, v5, vcc_lo
.LBB0_6:                                ;   in Loop: Header=BB0_2 Depth=1
	s_or_b32 exec_lo, exec_lo, s0
	v_mul_lo_u32 v5, v4, s24
	v_mul_lo_u32 v9, v3, s25
	s_load_dwordx2 s[0:1], s[6:7], 0x0
	v_mad_u64_u32 v[14:15], null, v3, s24, 0
	s_load_dwordx2 s[24:25], s[2:3], 0x0
	s_add_u32 s22, s22, 1
	s_addc_u32 s23, s23, 0
	s_add_u32 s2, s2, 8
	s_addc_u32 s3, s3, 0
	s_add_u32 s6, s6, 8
	v_add3_u32 v5, v15, v9, v5
	v_sub_co_u32 v9, vcc_lo, v12, v14
	s_addc_u32 s7, s7, 0
	s_add_u32 s20, s20, 8
	v_sub_co_ci_u32_e32 v5, vcc_lo, v13, v5, vcc_lo
	s_addc_u32 s21, s21, 0
	s_waitcnt lgkmcnt(0)
	v_mul_lo_u32 v11, s0, v5
	v_mul_lo_u32 v12, s1, v9
	v_mad_u64_u32 v[6:7], null, s0, v9, v[6:7]
	v_mul_lo_u32 v5, s24, v5
	v_mul_lo_u32 v13, s25, v9
	v_mad_u64_u32 v[1:2], null, s24, v9, v[1:2]
	v_cmp_ge_u64_e64 s0, s[22:23], s[14:15]
	v_add3_u32 v7, v12, v7, v11
	v_add3_u32 v2, v13, v2, v5
	s_and_b32 vcc_lo, exec_lo, s0
	s_cbranch_vccnz .LBB0_8
; %bb.7:                                ;   in Loop: Header=BB0_2 Depth=1
	v_mov_b32_e32 v13, v4
	v_mov_b32_e32 v12, v3
	s_branch .LBB0_2
.LBB0_8:
	s_load_dwordx2 s[0:1], s[4:5], 0x28
	v_mul_hi_u32 v5, 0xcccccccd, v8
	v_mul_hi_u32 v9, 0xa3d70a4, v0
	s_lshl_b64 s[4:5], s[14:15], 3
	s_add_u32 s2, s18, s4
	s_addc_u32 s3, s19, s5
	v_lshrrev_b32_e32 v5, 2, v5
	v_lshl_add_u32 v5, v5, 2, v5
	v_sub_nc_u32_e32 v8, v8, v5
	s_waitcnt lgkmcnt(0)
	v_cmp_gt_u64_e32 vcc_lo, s[0:1], v[3:4]
	v_cmp_le_u64_e64 s0, s[0:1], v[3:4]
                                        ; implicit-def: $vgpr5
	s_and_saveexec_b32 s1, s0
	s_xor_b32 s0, exec_lo, s1
; %bb.9:
	v_mul_u32_u24_e32 v5, 25, v9
                                        ; implicit-def: $vgpr9
                                        ; implicit-def: $vgpr6_vgpr7
	v_sub_nc_u32_e32 v5, v0, v5
                                        ; implicit-def: $vgpr0
; %bb.10:
	s_or_saveexec_b32 s1, s0
	s_load_dwordx2 s[2:3], s[2:3], 0x0
	v_mul_u32_u24_e32 v8, 0xfb, v8
	v_lshlrev_b32_e32 v11, 2, v8
	s_xor_b32 exec_lo, exec_lo, s1
	s_cbranch_execz .LBB0_14
; %bb.11:
	s_add_u32 s4, s16, s4
	s_addc_u32 s5, s17, s5
	v_lshlrev_b64 v[6:7], 2, v[6:7]
	s_load_dwordx2 s[4:5], s[4:5], 0x0
	s_waitcnt lgkmcnt(0)
	v_mul_lo_u32 v5, s5, v3
	v_mul_lo_u32 v10, s4, v4
	v_mad_u64_u32 v[12:13], null, s4, v3, 0
	s_mov_b32 s4, exec_lo
	v_add3_u32 v13, v13, v10, v5
	v_mul_u32_u24_e32 v5, 25, v9
	v_lshlrev_b64 v[9:10], 2, v[12:13]
	v_sub_nc_u32_e32 v5, v0, v5
	v_lshlrev_b32_e32 v12, 2, v5
	v_add_co_u32 v0, s0, s8, v9
	v_add_co_ci_u32_e64 v9, s0, s9, v10, s0
	v_add_co_u32 v6, s0, v0, v6
	v_add_co_ci_u32_e64 v7, s0, v9, v7, s0
	v_add3_u32 v0, 0, v11, v12
	v_add_co_u32 v9, s0, v6, v12
	v_add_co_ci_u32_e64 v10, s0, 0, v7, s0
	s_clause 0x9
	global_load_dword v13, v[9:10], off
	global_load_dword v14, v[9:10], off offset:100
	global_load_dword v15, v[9:10], off offset:200
	global_load_dword v16, v[9:10], off offset:300
	global_load_dword v17, v[9:10], off offset:400
	global_load_dword v18, v[9:10], off offset:500
	global_load_dword v19, v[9:10], off offset:600
	global_load_dword v20, v[9:10], off offset:700
	global_load_dword v21, v[9:10], off offset:800
	global_load_dword v9, v[9:10], off offset:900
	s_waitcnt vmcnt(8)
	ds_write2_b32 v0, v13, v14 offset1:25
	s_waitcnt vmcnt(6)
	ds_write2_b32 v0, v15, v16 offset0:50 offset1:75
	s_waitcnt vmcnt(4)
	ds_write2_b32 v0, v17, v18 offset0:100 offset1:125
	;; [unrolled: 2-line block ×4, first 2 shown]
	v_cmpx_eq_u32_e32 24, v5
	s_cbranch_execz .LBB0_13
; %bb.12:
	global_load_dword v6, v[6:7], off offset:1000
	v_mov_b32_e32 v5, 24
	s_waitcnt vmcnt(0)
	ds_write_b32 v0, v6 offset:904
.LBB0_13:
	s_or_b32 exec_lo, exec_lo, s4
.LBB0_14:
	s_or_b32 exec_lo, exec_lo, s1
	v_lshl_add_u32 v0, v8, 2, 0
	v_lshlrev_b32_e32 v7, 2, v5
	s_waitcnt lgkmcnt(0)
	s_barrier
	buffer_gl0_inv
	s_mov_b32 s1, exec_lo
	v_add_nc_u32_e32 v10, v0, v7
	v_sub_nc_u32_e32 v12, v0, v7
                                        ; implicit-def: $vgpr8_vgpr9
	ds_read_u16 v15, v10
	ds_read_u16 v16, v12 offset:1000
	s_waitcnt lgkmcnt(0)
	v_add_f16_e32 v14, v16, v15
	v_sub_f16_e32 v13, v15, v16
	v_cmpx_ne_u32_e32 0, v5
	s_xor_b32 s1, exec_lo, s1
	s_cbranch_execz .LBB0_16
; %bb.15:
	v_mov_b32_e32 v6, 0
	v_add_f16_e32 v14, v16, v15
	v_sub_f16_e32 v15, v15, v16
	v_lshlrev_b64 v[8:9], 2, v[5:6]
	v_add_co_u32 v8, s0, s12, v8
	v_add_co_ci_u32_e64 v9, s0, s13, v9, s0
	global_load_dword v8, v[8:9], off offset:960
	ds_read_u16 v9, v12 offset:1002
	ds_read_u16 v13, v10 offset:2
	s_waitcnt lgkmcnt(0)
	v_add_f16_e32 v16, v9, v13
	v_sub_f16_e32 v9, v13, v9
	s_waitcnt vmcnt(0)
	v_lshrrev_b32_e32 v17, 16, v8
	v_fma_f16 v18, -v15, v17, v14
	v_fma_f16 v19, v16, v17, -v9
	v_fma_f16 v13, v16, v17, v9
	v_fma_f16 v14, v15, v17, v14
	v_fmac_f16_e32 v18, v8, v16
	v_fmac_f16_e32 v19, v15, v8
	;; [unrolled: 1-line block ×3, first 2 shown]
	v_fma_f16 v14, -v8, v16, v14
	v_mov_b32_e32 v9, v6
	v_mov_b32_e32 v8, v5
	v_pack_b32_f16 v15, v18, v19
	ds_write_b32 v12, v15 offset:1000
.LBB0_16:
	s_andn2_saveexec_b32 s0, s1
	s_cbranch_execz .LBB0_18
; %bb.17:
	ds_read_b32 v6, v0 offset:500
	v_mov_b32_e32 v8, 0
	v_mov_b32_e32 v9, 0
	s_waitcnt lgkmcnt(0)
	v_pk_mul_f16 v6, 0xc0004000, v6
	ds_write_b32 v0, v6 offset:500
.LBB0_18:
	s_or_b32 exec_lo, exec_lo, s0
	v_lshlrev_b64 v[8:9], 2, v[8:9]
	s_add_u32 s0, s12, 0x3c0
	s_addc_u32 s1, s13, 0
	v_add_co_u32 v8, s0, s0, v8
	v_add_co_ci_u32_e64 v9, s0, s1, v9, s0
	s_clause 0x3
	global_load_dword v6, v[8:9], off offset:100
	global_load_dword v15, v[8:9], off offset:200
	;; [unrolled: 1-line block ×4, first 2 shown]
	v_perm_b32 v9, v13, v14, 0x5040100
	ds_write_b32 v10, v9
	ds_read_b32 v9, v10 offset:100
	ds_read_b32 v13, v12 offset:900
	s_waitcnt lgkmcnt(0)
	v_add_f16_e32 v14, v9, v13
	v_add_f16_sdwa v17, v13, v9 dst_sel:DWORD dst_unused:UNUSED_PAD src0_sel:WORD_1 src1_sel:WORD_1
	v_sub_f16_e32 v18, v9, v13
	v_sub_f16_sdwa v9, v9, v13 dst_sel:DWORD dst_unused:UNUSED_PAD src0_sel:WORD_1 src1_sel:WORD_1
	s_waitcnt vmcnt(3)
	v_lshrrev_b32_e32 v19, 16, v6
	v_fma_f16 v13, v18, v19, v14
	v_fma_f16 v20, v17, v19, v9
	v_fma_f16 v14, -v18, v19, v14
	v_fma_f16 v9, v17, v19, -v9
	v_fma_f16 v13, -v6, v17, v13
	v_fmac_f16_e32 v20, v18, v6
	v_fmac_f16_e32 v14, v6, v17
	;; [unrolled: 1-line block ×3, first 2 shown]
	v_pack_b32_f16 v6, v13, v20
	s_waitcnt vmcnt(2)
	v_lshrrev_b32_e32 v13, 16, v15
	v_pack_b32_f16 v9, v14, v9
	ds_write_b32 v10, v6 offset:100
	ds_write_b32 v12, v9 offset:900
	ds_read_b32 v6, v10 offset:200
	ds_read_b32 v9, v12 offset:800
	s_waitcnt lgkmcnt(0)
	v_add_f16_e32 v14, v6, v9
	v_add_f16_sdwa v17, v9, v6 dst_sel:DWORD dst_unused:UNUSED_PAD src0_sel:WORD_1 src1_sel:WORD_1
	v_sub_f16_e32 v18, v6, v9
	v_sub_f16_sdwa v6, v6, v9 dst_sel:DWORD dst_unused:UNUSED_PAD src0_sel:WORD_1 src1_sel:WORD_1
	v_fma_f16 v9, v18, v13, v14
	v_fma_f16 v19, v17, v13, v6
	v_fma_f16 v14, -v18, v13, v14
	v_fma_f16 v6, v17, v13, -v6
	s_waitcnt vmcnt(1)
	v_lshrrev_b32_e32 v13, 16, v16
	v_fma_f16 v9, -v15, v17, v9
	v_fmac_f16_e32 v19, v18, v15
	v_fmac_f16_e32 v14, v15, v17
	;; [unrolled: 1-line block ×3, first 2 shown]
	v_pack_b32_f16 v9, v9, v19
	v_pack_b32_f16 v6, v14, v6
	ds_write_b32 v10, v9 offset:200
	ds_write_b32 v12, v6 offset:800
	ds_read_b32 v6, v10 offset:300
	ds_read_b32 v9, v12 offset:700
	s_waitcnt lgkmcnt(0)
	v_add_f16_e32 v14, v6, v9
	v_add_f16_sdwa v15, v9, v6 dst_sel:DWORD dst_unused:UNUSED_PAD src0_sel:WORD_1 src1_sel:WORD_1
	v_sub_f16_e32 v17, v6, v9
	v_sub_f16_sdwa v6, v6, v9 dst_sel:DWORD dst_unused:UNUSED_PAD src0_sel:WORD_1 src1_sel:WORD_1
	v_fma_f16 v9, v17, v13, v14
	v_fma_f16 v18, v15, v13, v6
	v_fma_f16 v14, -v17, v13, v14
	v_fma_f16 v6, v15, v13, -v6
	s_waitcnt vmcnt(0)
	v_lshrrev_b32_e32 v13, 16, v8
	v_fma_f16 v9, -v16, v15, v9
	v_fmac_f16_e32 v18, v17, v16
	v_fmac_f16_e32 v14, v16, v15
	;; [unrolled: 1-line block ×3, first 2 shown]
	v_pack_b32_f16 v9, v9, v18
	v_pack_b32_f16 v6, v14, v6
	ds_write_b32 v10, v9 offset:300
	ds_write_b32 v12, v6 offset:700
	ds_read_b32 v6, v10 offset:400
	ds_read_b32 v9, v12 offset:600
	s_waitcnt lgkmcnt(0)
	v_add_f16_e32 v14, v6, v9
	v_add_f16_sdwa v15, v9, v6 dst_sel:DWORD dst_unused:UNUSED_PAD src0_sel:WORD_1 src1_sel:WORD_1
	v_sub_f16_e32 v16, v6, v9
	v_sub_f16_sdwa v6, v6, v9 dst_sel:DWORD dst_unused:UNUSED_PAD src0_sel:WORD_1 src1_sel:WORD_1
	v_add_nc_u32_e32 v9, 25, v5
	v_fma_f16 v17, v16, v13, v14
	v_fma_f16 v18, v15, v13, v6
	v_fma_f16 v14, -v16, v13, v14
	v_fma_f16 v6, v15, v13, -v6
	v_and_b32_e32 v13, 0xff, v5
	v_fma_f16 v17, -v8, v15, v17
	v_fmac_f16_e32 v18, v16, v8
	v_fmac_f16_e32 v14, v8, v15
	;; [unrolled: 1-line block ×3, first 2 shown]
	v_mul_lo_u16 v8, 0xcd, v13
	v_and_b32_e32 v13, 0xff, v9
	v_pack_b32_f16 v15, v17, v18
	v_pack_b32_f16 v14, v14, v6
	v_lshrrev_b16 v25, 11, v8
	v_mul_lo_u16 v8, 0xcd, v13
	v_add3_u32 v6, 0, v7, v11
	ds_write_b32 v10, v15 offset:400
	ds_write_b32 v12, v14 offset:600
	s_waitcnt lgkmcnt(0)
	s_barrier
	v_lshrrev_b16 v26, 11, v8
	buffer_gl0_inv
	s_barrier
	buffer_gl0_inv
	v_mul_lo_u16 v22, v26, 10
	ds_read2_b32 v[13:14], v6 offset0:25 offset1:50
	ds_read2_b32 v[15:16], v6 offset0:75 offset1:100
	;; [unrolled: 1-line block ×4, first 2 shown]
	ds_read_b32 v21, v10
	v_mul_lo_u16 v12, v25, 10
	v_mov_b32_e32 v8, 4
	v_sub_nc_u16 v34, v9, v22
	ds_read_b32 v22, v6 offset:900
	s_waitcnt lgkmcnt(0)
	v_sub_nc_u16 v33, v5, v12
	v_mad_u32_u24 v12, v5, 36, v6
	s_barrier
	buffer_gl0_inv
	v_lshlrev_b32_sdwa v23, v8, v33 dst_sel:DWORD dst_unused:UNUSED_PAD src0_sel:DWORD src1_sel:BYTE_0
	v_lshlrev_b32_sdwa v8, v8, v34 dst_sel:DWORD dst_unused:UNUSED_PAD src0_sel:DWORD src1_sel:BYTE_0
	v_lshrrev_b32_e32 v55, 16, v13
	v_sub_f16_e32 v35, v16, v14
	v_add_f16_e32 v24, v16, v18
	v_add_f16_e32 v31, v14, v20
	v_sub_f16_e32 v32, v18, v20
	v_pk_add_f16 v36, v21, v14
	v_sub_f16_sdwa v41, v14, v16 dst_sel:DWORD dst_unused:UNUSED_PAD src0_sel:WORD_1 src1_sel:WORD_1
	v_sub_f16_sdwa v42, v20, v18 dst_sel:DWORD dst_unused:UNUSED_PAD src0_sel:WORD_1 src1_sel:WORD_1
	v_add_f16_e32 v45, v17, v19
	v_pk_add_f16 v53, v13, v15
	v_add_f16_sdwa v54, v17, v19 dst_sel:DWORD dst_unused:UNUSED_PAD src0_sel:WORD_1 src1_sel:WORD_1
	v_add_f16_sdwa v60, v15, v22 dst_sel:DWORD dst_unused:UNUSED_PAD src0_sel:WORD_1 src1_sel:WORD_1
	v_sub_f16_sdwa v27, v14, v20 dst_sel:DWORD dst_unused:UNUSED_PAD src0_sel:WORD_1 src1_sel:WORD_1
	v_sub_f16_sdwa v28, v16, v18 dst_sel:DWORD dst_unused:UNUSED_PAD src0_sel:WORD_1 src1_sel:WORD_1
	v_sub_f16_e32 v29, v20, v18
	v_sub_f16_e32 v30, v14, v16
	v_add_f16_sdwa v37, v16, v18 dst_sel:DWORD dst_unused:UNUSED_PAD src0_sel:WORD_1 src1_sel:WORD_1
	v_lshrrev_b32_e32 v38, 16, v21
	v_sub_f16_e32 v39, v14, v20
	v_sub_f16_e32 v40, v16, v18
	v_add_f16_sdwa v43, v14, v20 dst_sel:DWORD dst_unused:UNUSED_PAD src0_sel:WORD_1 src1_sel:WORD_1
	v_sub_f16_sdwa v14, v16, v14 dst_sel:DWORD dst_unused:UNUSED_PAD src0_sel:WORD_1 src1_sel:WORD_1
	v_sub_f16_sdwa v46, v15, v22 dst_sel:DWORD dst_unused:UNUSED_PAD src0_sel:WORD_1 src1_sel:WORD_1
	;; [unrolled: 1-line block ×3, first 2 shown]
	v_sub_f16_e32 v48, v22, v19
	v_sub_f16_e32 v49, v15, v17
	v_add_f16_e32 v50, v15, v22
	v_sub_f16_e32 v52, v17, v15
	v_sub_f16_e32 v56, v15, v22
	;; [unrolled: 1-line block ×3, first 2 shown]
	v_sub_f16_sdwa v58, v15, v17 dst_sel:DWORD dst_unused:UNUSED_PAD src0_sel:WORD_1 src1_sel:WORD_1
	v_sub_f16_sdwa v15, v17, v15 dst_sel:DWORD dst_unused:UNUSED_PAD src0_sel:WORD_1 src1_sel:WORD_1
	v_fma_f16 v24, -0.5, v24, v21
	v_fma_f16 v21, -0.5, v31, v21
	v_add_f16_e32 v31, v35, v32
	v_pk_add_f16 v16, v36, v16
	v_add_f16_e32 v35, v41, v42
	v_fma_f16 v36, -0.5, v45, v13
	v_pk_add_f16 v17, v53, v17
	v_fma_f16 v42, -0.5, v54, v55
	v_fmac_f16_e32 v55, -0.5, v60
	v_sub_f16_e32 v51, v19, v22
	v_sub_f16_sdwa v59, v22, v19 dst_sel:DWORD dst_unused:UNUSED_PAD src0_sel:WORD_1 src1_sel:WORD_1
	v_add_f16_e32 v29, v30, v29
	v_sub_f16_sdwa v30, v19, v22 dst_sel:DWORD dst_unused:UNUSED_PAD src0_sel:WORD_1 src1_sel:WORD_1
	v_fma_f16 v32, -0.5, v37, v38
	v_fmac_f16_e32 v38, -0.5, v43
	v_add_f16_e32 v37, v49, v48
	v_fmamk_f16 v48, v46, 0xbb9c, v36
	v_pk_add_f16 v17, v17, v19
	v_fmamk_f16 v19, v56, 0x3b9c, v42
	v_fma_f16 v13, -0.5, v50, v13
	v_fmamk_f16 v50, v57, 0xbb9c, v55
	v_fmac_f16_e32 v55, 0x3b9c, v57
	v_sub_f16_sdwa v44, v18, v20 dst_sel:DWORD dst_unused:UNUSED_PAD src0_sel:WORD_1 src1_sel:WORD_1
	v_fmac_f16_e32 v42, 0xbb9c, v56
	v_add_f16_e32 v43, v58, v59
	v_pk_add_f16 v16, v16, v18
	v_fmamk_f16 v45, v40, 0xbb9c, v38
	v_fmac_f16_e32 v38, 0x3b9c, v40
	v_fmac_f16_e32 v48, 0xb8b4, v47
	;; [unrolled: 1-line block ×3, first 2 shown]
	v_add_f16_e32 v15, v15, v30
	v_fmamk_f16 v30, v27, 0xbb9c, v24
	v_fmac_f16_e32 v24, 0x3b9c, v27
	v_fmamk_f16 v49, v47, 0x3b9c, v13
	v_fmac_f16_e32 v13, 0xbb9c, v47
	v_fmac_f16_e32 v50, 0x38b4, v56
	;; [unrolled: 1-line block ×3, first 2 shown]
	v_add_f16_e32 v14, v14, v44
	v_fmamk_f16 v44, v28, 0x3b9c, v21
	v_fmac_f16_e32 v21, 0xbb9c, v28
	v_fmac_f16_e32 v36, 0x3b9c, v46
	;; [unrolled: 1-line block ×3, first 2 shown]
	v_fmamk_f16 v18, v39, 0x3b9c, v32
	v_pk_add_f16 v16, v16, v20
	v_fmac_f16_e32 v45, 0x38b4, v39
	v_fmac_f16_e32 v38, 0xb8b4, v39
	v_pk_add_f16 v17, v17, v22
	v_fmac_f16_e32 v48, 0x34f2, v37
	v_fmac_f16_e32 v19, 0x34f2, v43
	v_add_f16_e32 v41, v52, v51
	v_fmac_f16_e32 v30, 0xb8b4, v28
	v_fmac_f16_e32 v24, 0x38b4, v28
	;; [unrolled: 1-line block ×14, first 2 shown]
	v_pk_add_f16 v14, v16, v17
	v_pk_add_f16 v15, v16, v17 neg_lo:[0,1] neg_hi:[0,1]
	v_mul_f16_e32 v16, 0xb8b4, v19
	v_mul_f16_e32 v27, 0x38b4, v48
	v_fmac_f16_e32 v30, 0x34f2, v29
	v_fmac_f16_e32 v24, 0x34f2, v29
	;; [unrolled: 1-line block ×4, first 2 shown]
	v_mul_f16_e32 v17, 0xbb9c, v50
	v_mul_f16_e32 v20, 0xbb9c, v55
	;; [unrolled: 1-line block ×4, first 2 shown]
	v_fmac_f16_e32 v32, 0xb8b4, v40
	v_fmac_f16_e32 v44, 0x34f2, v31
	;; [unrolled: 1-line block ×4, first 2 shown]
	v_mul_f16_e32 v22, 0xb8b4, v42
	v_mul_f16_e32 v31, 0xba79, v42
	v_fmac_f16_e32 v18, 0x34f2, v35
	v_fmac_f16_e32 v16, 0x3a79, v48
	;; [unrolled: 1-line block ×10, first 2 shown]
	v_add_f16_e32 v13, v30, v16
	v_add_f16_e32 v37, v18, v27
	v_add_f16_e32 v19, v44, v17
	v_add_f16_e32 v35, v21, v20
	v_add_f16_e32 v39, v45, v28
	v_add_f16_e32 v40, v38, v29
	v_add_f16_e32 v36, v24, v22
	v_add_f16_e32 v41, v32, v31
	v_sub_f16_e32 v16, v30, v16
	v_sub_f16_e32 v17, v44, v17
	;; [unrolled: 1-line block ×8, first 2 shown]
	v_pack_b32_f16 v13, v13, v37
	v_pack_b32_f16 v28, v35, v40
	;; [unrolled: 1-line block ×8, first 2 shown]
	ds_write2_b32 v12, v14, v13 offset1:1
	ds_write2_b32 v12, v19, v28 offset0:2 offset1:3
	ds_write2_b32 v12, v29, v15 offset0:4 offset1:5
	;; [unrolled: 1-line block ×4, first 2 shown]
	s_waitcnt lgkmcnt(0)
	s_barrier
	buffer_gl0_inv
	s_clause 0x1
	global_load_dwordx4 v[13:16], v23, s[12:13]
	global_load_dwordx4 v[17:20], v8, s[12:13]
	v_mov_b32_e32 v8, 0
	v_and_b32_e32 v35, 0xffff, v26
	v_mad_i32_i24 v12, 0xffffffdc, v5, v12
	v_lshlrev_b64 v[21:22], 2, v[7:8]
	v_lshlrev_b32_e32 v7, 2, v9
	v_mov_b32_e32 v9, 2
	v_mad_u32_u24 v35, 0xc8, v35, 0
	v_lshlrev_b64 v[23:24], 2, v[7:8]
	v_and_b32_e32 v7, 0xffff, v25
	ds_read_b32 v36, v10
	ds_read2_b32 v[25:26], v6 offset0:25 offset1:50
	ds_read2_b32 v[27:28], v6 offset0:125 offset1:150
	ds_read2_b32 v[29:30], v6 offset0:175 offset1:200
	ds_read_u16 v37, v6 offset:302
	ds_read_b32 v38, v6 offset:900
	ds_read2_b32 v[31:32], v6 offset0:75 offset1:100
	v_lshlrev_b32_sdwa v33, v9, v33 dst_sel:DWORD dst_unused:UNUSED_PAD src0_sel:DWORD src1_sel:BYTE_0
	v_lshlrev_b32_sdwa v9, v9, v34 dst_sel:DWORD dst_unused:UNUSED_PAD src0_sel:DWORD src1_sel:BYTE_0
	v_add_co_u32 v21, s0, s12, v21
	v_mad_u32_u24 v7, 0xc8, v7, 0
	v_add_co_ci_u32_e64 v22, s0, s13, v22, s0
	v_add3_u32 v9, v35, v9, v11
	s_waitcnt vmcnt(0) lgkmcnt(0)
	v_add3_u32 v7, v7, v33, v11
	s_barrier
	buffer_gl0_inv
	v_lshrrev_b32_e32 v11, 16, v36
	v_lshrrev_b32_e32 v39, 16, v26
	v_lshrrev_b32_e32 v42, 16, v28
	v_lshrrev_b32_e32 v43, 16, v30
	v_lshrrev_b32_e32 v34, 16, v27
	v_lshrrev_b32_e32 v35, 16, v29
	v_lshrrev_b32_e32 v41, 16, v32
	v_lshrrev_b32_e32 v40, 16, v38
	v_lshrrev_b32_e32 v33, 16, v25
	v_mul_f16_sdwa v44, v13, v39 dst_sel:DWORD dst_unused:UNUSED_PAD src0_sel:WORD_1 src1_sel:DWORD
	v_mul_f16_sdwa v45, v13, v26 dst_sel:DWORD dst_unused:UNUSED_PAD src0_sel:WORD_1 src1_sel:DWORD
	;; [unrolled: 1-line block ×8, first 2 shown]
	v_mul_f16_sdwa v52, v37, v17 dst_sel:DWORD dst_unused:UNUSED_PAD src0_sel:DWORD src1_sel:WORD_1
	v_mul_f16_sdwa v53, v17, v31 dst_sel:DWORD dst_unused:UNUSED_PAD src0_sel:WORD_1 src1_sel:DWORD
	v_mul_f16_sdwa v54, v34, v18 dst_sel:DWORD dst_unused:UNUSED_PAD src0_sel:DWORD src1_sel:WORD_1
	v_mul_f16_sdwa v55, v27, v18 dst_sel:DWORD dst_unused:UNUSED_PAD src0_sel:DWORD src1_sel:WORD_1
	;; [unrolled: 1-line block ×4, first 2 shown]
	v_fmac_f16_e32 v44, v13, v26
	v_mul_f16_sdwa v58, v40, v20 dst_sel:DWORD dst_unused:UNUSED_PAD src0_sel:DWORD src1_sel:WORD_1
	v_mul_f16_sdwa v59, v38, v20 dst_sel:DWORD dst_unused:UNUSED_PAD src0_sel:DWORD src1_sel:WORD_1
	v_fma_f16 v13, v13, v39, -v45
	v_fmac_f16_e32 v46, v14, v32
	v_fma_f16 v14, v14, v41, -v47
	v_fmac_f16_e32 v48, v15, v28
	;; [unrolled: 2-line block ×6, first 2 shown]
	v_fma_f16 v19, v35, v19, -v57
	v_add_f16_e32 v26, v36, v44
	v_fmac_f16_e32 v58, v38, v20
	v_fma_f16 v20, v40, v20, -v59
	v_add_f16_e32 v37, v11, v13
	v_add_f16_e32 v27, v46, v48
	;; [unrolled: 1-line block ×3, first 2 shown]
	v_sub_f16_e32 v34, v46, v44
	v_sub_f16_e32 v35, v48, v50
	v_add_f16_e32 v38, v14, v15
	v_sub_f16_e32 v41, v13, v14
	v_sub_f16_e32 v42, v16, v15
	v_add_f16_e32 v43, v13, v16
	v_sub_f16_e32 v28, v13, v16
	v_sub_f16_e32 v30, v44, v46
	;; [unrolled: 1-line block ×6, first 2 shown]
	v_add_f16_e32 v47, v54, v56
	v_add_f16_e32 v61, v33, v17
	;; [unrolled: 1-line block ×4, first 2 shown]
	v_sub_f16_e32 v29, v14, v15
	v_sub_f16_e32 v31, v50, v48
	v_add_f16_e32 v57, v52, v58
	v_add_f16_e32 v14, v37, v14
	;; [unrolled: 1-line block ×3, first 2 shown]
	v_fma_f16 v27, -0.5, v27, v36
	v_fmac_f16_e32 v36, -0.5, v32
	v_sub_f16_e32 v32, v17, v18
	v_add_f16_e32 v34, v34, v35
	v_sub_f16_e32 v35, v20, v19
	v_fma_f16 v38, -0.5, v38, v11
	v_add_f16_e32 v45, v25, v52
	v_sub_f16_e32 v49, v17, v20
	v_sub_f16_e32 v17, v18, v17
	v_add_f16_e32 v41, v41, v42
	v_sub_f16_e32 v42, v19, v20
	v_fmac_f16_e32 v11, -0.5, v43
	v_sub_f16_e32 v51, v18, v19
	v_sub_f16_e32 v53, v52, v54
	v_sub_f16_e32 v59, v54, v52
	v_sub_f16_e32 v52, v52, v58
	v_add_f16_e32 v13, v13, v44
	v_fma_f16 v44, -0.5, v47, v25
	v_add_f16_e32 v18, v61, v18
	v_fma_f16 v46, -0.5, v46, v33
	v_sub_f16_e32 v55, v58, v56
	v_add_f16_e32 v30, v30, v31
	v_sub_f16_e32 v31, v54, v56
	v_fmac_f16_e32 v25, -0.5, v57
	v_fmac_f16_e32 v33, -0.5, v37
	v_add_f16_e32 v32, v32, v35
	v_fmamk_f16 v35, v28, 0xbb9c, v27
	v_add_f16_e32 v14, v14, v15
	v_fmamk_f16 v15, v39, 0x3b9c, v38
	v_add_f16_e32 v43, v45, v54
	v_add_f16_e32 v17, v17, v42
	v_fmamk_f16 v37, v29, 0x3b9c, v36
	v_fmac_f16_e32 v36, 0xbb9c, v29
	v_fmamk_f16 v42, v40, 0xbb9c, v11
	v_fmac_f16_e32 v11, 0x3b9c, v40
	v_fmac_f16_e32 v27, 0x3b9c, v28
	;; [unrolled: 1-line block ×3, first 2 shown]
	v_add_f16_e32 v26, v26, v48
	v_fmamk_f16 v48, v49, 0xbb9c, v44
	v_add_f16_e32 v18, v18, v19
	v_fmamk_f16 v19, v52, 0x3b9c, v46
	v_sub_f16_e32 v60, v56, v58
	v_add_f16_e32 v45, v53, v55
	v_fmamk_f16 v53, v51, 0x3b9c, v25
	v_fmac_f16_e32 v25, 0xbb9c, v51
	v_fmamk_f16 v54, v31, 0xbb9c, v33
	v_fmac_f16_e32 v33, 0x3b9c, v31
	v_fmac_f16_e32 v44, 0x3b9c, v49
	;; [unrolled: 1-line block ×5, first 2 shown]
	v_add_f16_e32 v43, v43, v56
	v_fmac_f16_e32 v37, 0xb8b4, v28
	v_fmac_f16_e32 v36, 0x38b4, v28
	;; [unrolled: 1-line block ×8, first 2 shown]
	v_add_f16_e32 v47, v59, v60
	v_fmac_f16_e32 v53, 0xb8b4, v49
	v_fmac_f16_e32 v25, 0x38b4, v49
	;; [unrolled: 1-line block ×4, first 2 shown]
	v_add_f16_e32 v26, v26, v50
	v_add_f16_e32 v14, v14, v16
	v_fmac_f16_e32 v44, 0x38b4, v51
	v_fmac_f16_e32 v46, 0xb8b4, v31
	v_fmac_f16_e32 v35, 0x34f2, v30
	v_fmac_f16_e32 v15, 0x34f2, v41
	v_add_f16_e32 v16, v43, v58
	v_add_f16_e32 v18, v18, v20
	v_fmac_f16_e32 v37, 0x34f2, v34
	v_fmac_f16_e32 v36, 0x34f2, v34
	;; [unrolled: 1-line block ×14, first 2 shown]
	v_pack_b32_f16 v13, v26, v14
	v_pack_b32_f16 v15, v35, v15
	;; [unrolled: 1-line block ×10, first 2 shown]
	ds_write2_b32 v7, v13, v15 offset1:10
	ds_write2_b32 v7, v16, v11 offset0:20 offset1:30
	ds_write_b32 v7, v17 offset:160
	ds_write2_b32 v9, v14, v18 offset1:10
	ds_write2_b32 v9, v19, v20 offset0:20 offset1:30
	ds_write_b32 v9, v25 offset:160
	v_add_co_u32 v17, s0, s12, v23
	v_add_co_ci_u32_e64 v18, s0, s13, v24, s0
	s_waitcnt lgkmcnt(0)
	s_barrier
	buffer_gl0_inv
	s_clause 0x1
	global_load_dwordx4 v[13:16], v[21:22], off offset:160
	global_load_dwordx4 v[17:20], v[17:18], off offset:160
	ds_read_b32 v7, v10
	ds_read2_b32 v[9:10], v6 offset0:25 offset1:50
	ds_read2_b32 v[21:22], v6 offset0:125 offset1:150
	ds_read2_b32 v[23:24], v6 offset0:175 offset1:200
	ds_read_b32 v11, v6 offset:900
	ds_read2_b32 v[25:26], v6 offset0:75 offset1:100
	s_waitcnt vmcnt(0) lgkmcnt(0)
	s_barrier
	buffer_gl0_inv
	v_lshrrev_b32_e32 v27, 16, v7
	v_lshrrev_b32_e32 v32, 16, v10
	;; [unrolled: 1-line block ×10, first 2 shown]
	v_mul_f16_sdwa v37, v13, v32 dst_sel:DWORD dst_unused:UNUSED_PAD src0_sel:WORD_1 src1_sel:DWORD
	v_mul_f16_sdwa v38, v13, v10 dst_sel:DWORD dst_unused:UNUSED_PAD src0_sel:WORD_1 src1_sel:DWORD
	;; [unrolled: 1-line block ×10, first 2 shown]
	v_mul_f16_sdwa v47, v29, v18 dst_sel:DWORD dst_unused:UNUSED_PAD src0_sel:DWORD src1_sel:WORD_1
	v_mul_f16_sdwa v48, v21, v18 dst_sel:DWORD dst_unused:UNUSED_PAD src0_sel:DWORD src1_sel:WORD_1
	;; [unrolled: 1-line block ×5, first 2 shown]
	v_fmac_f16_e32 v37, v13, v10
	v_fma_f16 v10, v13, v32, -v38
	v_fmac_f16_e32 v39, v14, v26
	v_fma_f16 v13, v14, v33, -v40
	;; [unrolled: 2-line block ×4, first 2 shown]
	v_mul_f16_sdwa v49, v30, v19 dst_sel:DWORD dst_unused:UNUSED_PAD src0_sel:DWORD src1_sel:WORD_1
	v_fmac_f16_e32 v45, v17, v25
	v_fma_f16 v16, v17, v36, -v46
	v_fmac_f16_e32 v47, v21, v18
	v_fma_f16 v17, v29, v18, -v48
	v_fma_f16 v18, v30, v19, -v50
	v_fmac_f16_e32 v51, v11, v20
	v_fma_f16 v11, v31, v20, -v52
	v_add_f16_e32 v20, v39, v41
	v_add_f16_e32 v25, v37, v43
	;; [unrolled: 1-line block ×5, first 2 shown]
	v_fmac_f16_e32 v49, v23, v19
	v_add_f16_e32 v19, v7, v37
	v_sub_f16_e32 v23, v37, v39
	v_sub_f16_e32 v24, v43, v41
	v_sub_f16_e32 v26, v39, v37
	v_sub_f16_e32 v29, v41, v43
	v_add_f16_e32 v38, v9, v45
	v_add_f16_e32 v54, v28, v16
	v_sub_f16_e32 v21, v10, v15
	v_sub_f16_e32 v22, v13, v14
	;; [unrolled: 1-line block ×7, first 2 shown]
	v_fma_f16 v20, -0.5, v20, v7
	v_fmac_f16_e32 v7, -0.5, v25
	v_add_f16_e32 v13, v30, v13
	v_fma_f16 v25, -0.5, v31, v27
	v_fmac_f16_e32 v27, -0.5, v36
	v_add_f16_e32 v40, v47, v49
	v_sub_f16_e32 v35, v15, v14
	v_add_f16_e32 v55, v17, v18
	v_sub_f16_e32 v42, v16, v11
	v_sub_f16_e32 v44, v17, v18
	v_add_f16_e32 v50, v45, v51
	v_sub_f16_e32 v57, v16, v17
	v_add_f16_e32 v59, v16, v11
	;; [unrolled: 2-line block ×3, first 2 shown]
	v_add_f16_e32 v23, v23, v24
	v_add_f16_e32 v24, v26, v29
	;; [unrolled: 1-line block ×5, first 2 shown]
	v_fmamk_f16 v37, v21, 0xbb9c, v20
	v_fmamk_f16 v38, v22, 0x3b9c, v7
	v_add_f16_e32 v13, v13, v14
	v_fmamk_f16 v14, v32, 0x3b9c, v25
	v_fmamk_f16 v39, v33, 0xbb9c, v27
	v_fmac_f16_e32 v20, 0x3b9c, v21
	v_fmac_f16_e32 v7, 0xbb9c, v22
	;; [unrolled: 1-line block ×4, first 2 shown]
	v_fma_f16 v30, -0.5, v40, v9
	v_sub_f16_e32 v46, v45, v47
	v_sub_f16_e32 v52, v47, v45
	;; [unrolled: 1-line block ×3, first 2 shown]
	v_add_f16_e32 v26, v34, v35
	v_fma_f16 v35, -0.5, v55, v28
	v_sub_f16_e32 v48, v51, v49
	v_sub_f16_e32 v56, v47, v49
	v_fmac_f16_e32 v9, -0.5, v50
	v_fmac_f16_e32 v28, -0.5, v59
	v_add_f16_e32 v19, v19, v41
	v_add_f16_e32 v29, v29, v49
	;; [unrolled: 1-line block ×3, first 2 shown]
	v_fmac_f16_e32 v37, 0xb8b4, v22
	v_fmac_f16_e32 v38, 0xb8b4, v21
	;; [unrolled: 1-line block ×8, first 2 shown]
	v_fmamk_f16 v40, v42, 0xbb9c, v30
	v_sub_f16_e32 v58, v11, v18
	v_sub_f16_e32 v60, v18, v11
	v_fmamk_f16 v18, v45, 0x3b9c, v35
	v_sub_f16_e32 v53, v49, v51
	v_add_f16_e32 v31, v46, v48
	v_fmac_f16_e32 v30, 0x3b9c, v42
	v_fmamk_f16 v41, v44, 0x3b9c, v9
	v_fmac_f16_e32 v9, 0xbb9c, v44
	v_fmac_f16_e32 v35, 0xbb9c, v45
	v_fmamk_f16 v46, v56, 0xbb9c, v28
	v_fmac_f16_e32 v28, 0x3b9c, v56
	v_add_f16_e32 v19, v19, v43
	v_add_f16_e32 v13, v13, v15
	v_add_f16_e32 v15, v29, v51
	v_add_f16_e32 v11, v17, v11
	v_fmac_f16_e32 v37, 0x34f2, v23
	v_fmac_f16_e32 v38, 0x34f2, v24
	;; [unrolled: 1-line block ×9, first 2 shown]
	v_add_f16_e32 v36, v57, v58
	v_fmac_f16_e32 v18, 0x38b4, v56
	v_add_f16_e32 v34, v52, v53
	v_add_f16_e32 v16, v16, v60
	v_fmac_f16_e32 v30, 0x38b4, v44
	v_fmac_f16_e32 v41, 0xb8b4, v42
	v_fmac_f16_e32 v9, 0x38b4, v42
	v_fmac_f16_e32 v35, 0xb8b4, v56
	v_fmac_f16_e32 v46, 0x38b4, v45
	v_fmac_f16_e32 v28, 0xb8b4, v45
	v_pack_b32_f16 v10, v19, v13
	v_pack_b32_f16 v11, v15, v11
	;; [unrolled: 1-line block ×6, first 2 shown]
	v_fmac_f16_e32 v40, 0x34f2, v31
	v_fmac_f16_e32 v18, 0x34f2, v36
	v_fmac_f16_e32 v30, 0x34f2, v31
	v_fmac_f16_e32 v41, 0x34f2, v34
	v_fmac_f16_e32 v9, 0x34f2, v34
	v_fmac_f16_e32 v35, 0x34f2, v36
	v_fmac_f16_e32 v46, 0x34f2, v16
	v_fmac_f16_e32 v28, 0x34f2, v16
	ds_write2_b32 v6, v10, v11 offset1:25
	ds_write2_b32 v6, v13, v14 offset0:50 offset1:100
	ds_write2_b32 v6, v7, v15 offset0:150 offset1:200
	ds_write_b16 v12, v40 offset:300
	ds_write_b16 v12, v18 offset:302
	;; [unrolled: 1-line block ×8, first 2 shown]
	s_waitcnt lgkmcnt(0)
	s_barrier
	buffer_gl0_inv
	s_and_saveexec_b32 s0, vcc_lo
	s_cbranch_execz .LBB0_20
; %bb.19:
	v_mul_lo_u32 v9, s3, v3
	v_mul_lo_u32 v10, s2, v4
	v_mad_u64_u32 v[3:4], null, s2, v3, 0
	v_lshl_add_u32 v21, v5, 2, v0
	v_lshlrev_b64 v[0:1], 2, v[1:2]
	v_mov_b32_e32 v6, v8
	v_add_nc_u32_e32 v7, 25, v5
	ds_read2_b32 v[11:12], v21 offset1:25
	v_add3_u32 v4, v4, v10, v9
	v_lshlrev_b64 v[13:14], 2, v[5:6]
	v_lshlrev_b64 v[9:10], 2, v[7:8]
	v_add_nc_u32_e32 v7, 50, v5
	ds_read2_b32 v[15:16], v21 offset0:50 offset1:75
	v_lshlrev_b64 v[2:3], 2, v[3:4]
	v_lshlrev_b64 v[17:18], 2, v[7:8]
	v_add_nc_u32_e32 v7, 0x4b, v5
	v_add_co_u32 v2, vcc_lo, s10, v2
	v_add_co_ci_u32_e32 v3, vcc_lo, s11, v3, vcc_lo
	v_add_co_u32 v22, vcc_lo, v2, v0
	v_add_co_ci_u32_e32 v23, vcc_lo, v3, v1, vcc_lo
	v_lshlrev_b64 v[0:1], 2, v[7:8]
	v_add_co_u32 v2, vcc_lo, v22, v13
	v_add_co_ci_u32_e32 v3, vcc_lo, v23, v14, vcc_lo
	v_add_co_u32 v9, vcc_lo, v22, v9
	v_add_nc_u32_e32 v7, 0x64, v5
	s_waitcnt lgkmcnt(1)
	global_store_dword v[2:3], v11, off
	ds_read2_b32 v[2:3], v21 offset0:100 offset1:125
	v_add_co_ci_u32_e32 v10, vcc_lo, v23, v10, vcc_lo
	v_add_co_u32 v13, vcc_lo, v22, v17
	v_add_co_ci_u32_e32 v14, vcc_lo, v23, v18, vcc_lo
	v_lshlrev_b64 v[17:18], 2, v[7:8]
	v_add_nc_u32_e32 v7, 0x7d, v5
	v_add_co_u32 v0, vcc_lo, v22, v0
	v_add_co_ci_u32_e32 v1, vcc_lo, v23, v1, vcc_lo
	v_lshlrev_b64 v[19:20], 2, v[7:8]
	v_add_nc_u32_e32 v7, 0x96, v5
	v_add_co_u32 v17, vcc_lo, v22, v17
	v_add_co_ci_u32_e32 v18, vcc_lo, v23, v18, vcc_lo
	global_store_dword v[9:10], v12, off
	s_waitcnt lgkmcnt(1)
	global_store_dword v[13:14], v15, off
	global_store_dword v[0:1], v16, off
	s_waitcnt lgkmcnt(0)
	global_store_dword v[17:18], v2, off
	v_lshlrev_b64 v[0:1], 2, v[7:8]
	v_add_nc_u32_e32 v7, 0xaf, v5
	ds_read2_b32 v[11:12], v21 offset0:150 offset1:175
	ds_read2_b32 v[15:16], v21 offset0:200 offset1:225
	v_add_co_u32 v9, vcc_lo, v22, v19
	v_lshlrev_b64 v[13:14], 2, v[7:8]
	v_add_nc_u32_e32 v7, 0xc8, v5
	v_add_co_ci_u32_e32 v10, vcc_lo, v23, v20, vcc_lo
	v_add_co_u32 v0, vcc_lo, v22, v0
	v_lshlrev_b64 v[17:18], 2, v[7:8]
	v_add_nc_u32_e32 v7, 0xe1, v5
	v_add_co_ci_u32_e32 v1, vcc_lo, v23, v1, vcc_lo
	v_add_co_u32 v4, vcc_lo, v22, v13
	v_lshlrev_b64 v[6:7], 2, v[7:8]
	v_add_co_ci_u32_e32 v5, vcc_lo, v23, v14, vcc_lo
	v_add_co_u32 v13, vcc_lo, v22, v17
	v_add_co_ci_u32_e32 v14, vcc_lo, v23, v18, vcc_lo
	v_add_co_u32 v6, vcc_lo, v22, v6
	v_add_co_ci_u32_e32 v7, vcc_lo, v23, v7, vcc_lo
	global_store_dword v[9:10], v3, off
	s_waitcnt lgkmcnt(1)
	global_store_dword v[0:1], v11, off
	global_store_dword v[4:5], v12, off
	s_waitcnt lgkmcnt(0)
	global_store_dword v[13:14], v15, off
	global_store_dword v[6:7], v16, off
.LBB0_20:
	s_endpgm
	.section	.rodata,"a",@progbits
	.p2align	6, 0x0
	.amdhsa_kernel fft_rtc_back_len250_factors_10_5_5_wgs_125_tpt_25_halfLds_half_op_CI_CI_unitstride_sbrr_C2R_dirReg
		.amdhsa_group_segment_fixed_size 0
		.amdhsa_private_segment_fixed_size 0
		.amdhsa_kernarg_size 104
		.amdhsa_user_sgpr_count 6
		.amdhsa_user_sgpr_private_segment_buffer 1
		.amdhsa_user_sgpr_dispatch_ptr 0
		.amdhsa_user_sgpr_queue_ptr 0
		.amdhsa_user_sgpr_kernarg_segment_ptr 1
		.amdhsa_user_sgpr_dispatch_id 0
		.amdhsa_user_sgpr_flat_scratch_init 0
		.amdhsa_user_sgpr_private_segment_size 0
		.amdhsa_wavefront_size32 1
		.amdhsa_uses_dynamic_stack 0
		.amdhsa_system_sgpr_private_segment_wavefront_offset 0
		.amdhsa_system_sgpr_workgroup_id_x 1
		.amdhsa_system_sgpr_workgroup_id_y 0
		.amdhsa_system_sgpr_workgroup_id_z 0
		.amdhsa_system_sgpr_workgroup_info 0
		.amdhsa_system_vgpr_workitem_id 0
		.amdhsa_next_free_vgpr 62
		.amdhsa_next_free_sgpr 27
		.amdhsa_reserve_vcc 1
		.amdhsa_reserve_flat_scratch 0
		.amdhsa_float_round_mode_32 0
		.amdhsa_float_round_mode_16_64 0
		.amdhsa_float_denorm_mode_32 3
		.amdhsa_float_denorm_mode_16_64 3
		.amdhsa_dx10_clamp 1
		.amdhsa_ieee_mode 1
		.amdhsa_fp16_overflow 0
		.amdhsa_workgroup_processor_mode 1
		.amdhsa_memory_ordered 1
		.amdhsa_forward_progress 0
		.amdhsa_shared_vgpr_count 0
		.amdhsa_exception_fp_ieee_invalid_op 0
		.amdhsa_exception_fp_denorm_src 0
		.amdhsa_exception_fp_ieee_div_zero 0
		.amdhsa_exception_fp_ieee_overflow 0
		.amdhsa_exception_fp_ieee_underflow 0
		.amdhsa_exception_fp_ieee_inexact 0
		.amdhsa_exception_int_div_zero 0
	.end_amdhsa_kernel
	.text
.Lfunc_end0:
	.size	fft_rtc_back_len250_factors_10_5_5_wgs_125_tpt_25_halfLds_half_op_CI_CI_unitstride_sbrr_C2R_dirReg, .Lfunc_end0-fft_rtc_back_len250_factors_10_5_5_wgs_125_tpt_25_halfLds_half_op_CI_CI_unitstride_sbrr_C2R_dirReg
                                        ; -- End function
	.section	.AMDGPU.csdata,"",@progbits
; Kernel info:
; codeLenInByte = 6732
; NumSgprs: 29
; NumVgprs: 62
; ScratchSize: 0
; MemoryBound: 0
; FloatMode: 240
; IeeeMode: 1
; LDSByteSize: 0 bytes/workgroup (compile time only)
; SGPRBlocks: 3
; VGPRBlocks: 7
; NumSGPRsForWavesPerEU: 29
; NumVGPRsForWavesPerEU: 62
; Occupancy: 16
; WaveLimiterHint : 1
; COMPUTE_PGM_RSRC2:SCRATCH_EN: 0
; COMPUTE_PGM_RSRC2:USER_SGPR: 6
; COMPUTE_PGM_RSRC2:TRAP_HANDLER: 0
; COMPUTE_PGM_RSRC2:TGID_X_EN: 1
; COMPUTE_PGM_RSRC2:TGID_Y_EN: 0
; COMPUTE_PGM_RSRC2:TGID_Z_EN: 0
; COMPUTE_PGM_RSRC2:TIDIG_COMP_CNT: 0
	.text
	.p2alignl 6, 3214868480
	.fill 48, 4, 3214868480
	.type	__hip_cuid_263165954bf8a80d,@object ; @__hip_cuid_263165954bf8a80d
	.section	.bss,"aw",@nobits
	.globl	__hip_cuid_263165954bf8a80d
__hip_cuid_263165954bf8a80d:
	.byte	0                               ; 0x0
	.size	__hip_cuid_263165954bf8a80d, 1

	.ident	"AMD clang version 19.0.0git (https://github.com/RadeonOpenCompute/llvm-project roc-6.4.0 25133 c7fe45cf4b819c5991fe208aaa96edf142730f1d)"
	.section	".note.GNU-stack","",@progbits
	.addrsig
	.addrsig_sym __hip_cuid_263165954bf8a80d
	.amdgpu_metadata
---
amdhsa.kernels:
  - .args:
      - .actual_access:  read_only
        .address_space:  global
        .offset:         0
        .size:           8
        .value_kind:     global_buffer
      - .offset:         8
        .size:           8
        .value_kind:     by_value
      - .actual_access:  read_only
        .address_space:  global
        .offset:         16
        .size:           8
        .value_kind:     global_buffer
      - .actual_access:  read_only
        .address_space:  global
        .offset:         24
        .size:           8
        .value_kind:     global_buffer
      - .actual_access:  read_only
        .address_space:  global
        .offset:         32
        .size:           8
        .value_kind:     global_buffer
      - .offset:         40
        .size:           8
        .value_kind:     by_value
      - .actual_access:  read_only
        .address_space:  global
        .offset:         48
        .size:           8
        .value_kind:     global_buffer
      - .actual_access:  read_only
        .address_space:  global
        .offset:         56
        .size:           8
        .value_kind:     global_buffer
      - .offset:         64
        .size:           4
        .value_kind:     by_value
      - .actual_access:  read_only
        .address_space:  global
        .offset:         72
        .size:           8
        .value_kind:     global_buffer
      - .actual_access:  read_only
        .address_space:  global
        .offset:         80
        .size:           8
        .value_kind:     global_buffer
      - .actual_access:  read_only
        .address_space:  global
        .offset:         88
        .size:           8
        .value_kind:     global_buffer
      - .actual_access:  write_only
        .address_space:  global
        .offset:         96
        .size:           8
        .value_kind:     global_buffer
    .group_segment_fixed_size: 0
    .kernarg_segment_align: 8
    .kernarg_segment_size: 104
    .language:       OpenCL C
    .language_version:
      - 2
      - 0
    .max_flat_workgroup_size: 125
    .name:           fft_rtc_back_len250_factors_10_5_5_wgs_125_tpt_25_halfLds_half_op_CI_CI_unitstride_sbrr_C2R_dirReg
    .private_segment_fixed_size: 0
    .sgpr_count:     29
    .sgpr_spill_count: 0
    .symbol:         fft_rtc_back_len250_factors_10_5_5_wgs_125_tpt_25_halfLds_half_op_CI_CI_unitstride_sbrr_C2R_dirReg.kd
    .uniform_work_group_size: 1
    .uses_dynamic_stack: false
    .vgpr_count:     62
    .vgpr_spill_count: 0
    .wavefront_size: 32
    .workgroup_processor_mode: 1
amdhsa.target:   amdgcn-amd-amdhsa--gfx1030
amdhsa.version:
  - 1
  - 2
...

	.end_amdgpu_metadata
